;; amdgpu-corpus repo=ROCm/rocFFT kind=compiled arch=gfx950 opt=O3
	.text
	.amdgcn_target "amdgcn-amd-amdhsa--gfx950"
	.amdhsa_code_object_version 6
	.protected	fft_rtc_fwd_len1100_factors_2_2_11_5_5_wgs_110_tpt_110_dp_ip_CI_unitstride_sbrr_dirReg ; -- Begin function fft_rtc_fwd_len1100_factors_2_2_11_5_5_wgs_110_tpt_110_dp_ip_CI_unitstride_sbrr_dirReg
	.globl	fft_rtc_fwd_len1100_factors_2_2_11_5_5_wgs_110_tpt_110_dp_ip_CI_unitstride_sbrr_dirReg
	.p2align	8
	.type	fft_rtc_fwd_len1100_factors_2_2_11_5_5_wgs_110_tpt_110_dp_ip_CI_unitstride_sbrr_dirReg,@function
fft_rtc_fwd_len1100_factors_2_2_11_5_5_wgs_110_tpt_110_dp_ip_CI_unitstride_sbrr_dirReg: ; @fft_rtc_fwd_len1100_factors_2_2_11_5_5_wgs_110_tpt_110_dp_ip_CI_unitstride_sbrr_dirReg
; %bb.0:
	s_load_dwordx2 s[8:9], s[0:1], 0x50
	s_load_dwordx4 s[4:7], s[0:1], 0x0
	s_load_dwordx2 s[10:11], s[0:1], 0x18
	v_mul_u32_u24_e32 v1, 0x254, v0
	v_add_u32_sdwa v6, s2, v1 dst_sel:DWORD dst_unused:UNUSED_PAD src0_sel:DWORD src1_sel:WORD_1
	v_mov_b32_e32 v4, 0
	s_waitcnt lgkmcnt(0)
	v_cmp_lt_u64_e64 s[2:3], s[6:7], 2
	v_mov_b32_e32 v7, v4
	s_and_b64 vcc, exec, s[2:3]
	v_mov_b64_e32 v[2:3], 0
	s_cbranch_vccnz .LBB0_8
; %bb.1:
	s_load_dwordx2 s[2:3], s[0:1], 0x10
	s_add_u32 s12, s10, 8
	s_addc_u32 s13, s11, 0
	s_mov_b64 s[14:15], 1
	v_mov_b64_e32 v[2:3], 0
	s_waitcnt lgkmcnt(0)
	s_add_u32 s16, s2, 8
	s_addc_u32 s17, s3, 0
.LBB0_2:                                ; =>This Inner Loop Header: Depth=1
	s_load_dwordx2 s[18:19], s[16:17], 0x0
                                        ; implicit-def: $vgpr8_vgpr9
	s_waitcnt lgkmcnt(0)
	v_or_b32_e32 v5, s19, v7
	v_cmp_ne_u64_e32 vcc, 0, v[4:5]
	s_and_saveexec_b64 s[2:3], vcc
	s_xor_b64 s[20:21], exec, s[2:3]
	s_cbranch_execz .LBB0_4
; %bb.3:                                ;   in Loop: Header=BB0_2 Depth=1
	v_cvt_f32_u32_e32 v1, s18
	v_cvt_f32_u32_e32 v5, s19
	s_sub_u32 s2, 0, s18
	s_subb_u32 s3, 0, s19
	v_fmac_f32_e32 v1, 0x4f800000, v5
	v_rcp_f32_e32 v1, v1
	s_nop 0
	v_mul_f32_e32 v1, 0x5f7ffffc, v1
	v_mul_f32_e32 v5, 0x2f800000, v1
	v_trunc_f32_e32 v5, v5
	v_fmac_f32_e32 v1, 0xcf800000, v5
	v_cvt_u32_f32_e32 v5, v5
	v_cvt_u32_f32_e32 v1, v1
	v_mul_lo_u32 v8, s2, v5
	v_mul_hi_u32 v10, s2, v1
	v_mul_lo_u32 v9, s3, v1
	v_add_u32_e32 v10, v10, v8
	v_mul_lo_u32 v12, s2, v1
	v_add_u32_e32 v13, v10, v9
	v_mul_hi_u32 v8, v1, v12
	v_mul_hi_u32 v11, v1, v13
	v_mul_lo_u32 v10, v1, v13
	v_mov_b32_e32 v9, v4
	v_lshl_add_u64 v[8:9], v[8:9], 0, v[10:11]
	v_mul_hi_u32 v11, v5, v12
	v_mul_lo_u32 v12, v5, v12
	v_add_co_u32_e32 v8, vcc, v8, v12
	v_mul_hi_u32 v10, v5, v13
	s_nop 0
	v_addc_co_u32_e32 v8, vcc, v9, v11, vcc
	v_mov_b32_e32 v9, v4
	s_nop 0
	v_addc_co_u32_e32 v11, vcc, 0, v10, vcc
	v_mul_lo_u32 v10, v5, v13
	v_lshl_add_u64 v[8:9], v[8:9], 0, v[10:11]
	v_add_co_u32_e32 v1, vcc, v1, v8
	v_mul_lo_u32 v10, s2, v1
	s_nop 0
	v_addc_co_u32_e32 v5, vcc, v5, v9, vcc
	v_mul_lo_u32 v8, s2, v5
	v_mul_hi_u32 v9, s2, v1
	v_add_u32_e32 v8, v9, v8
	v_mul_lo_u32 v9, s3, v1
	v_add_u32_e32 v12, v8, v9
	v_mul_hi_u32 v14, v5, v10
	v_mul_lo_u32 v15, v5, v10
	v_mul_hi_u32 v9, v1, v12
	v_mul_lo_u32 v8, v1, v12
	v_mul_hi_u32 v10, v1, v10
	v_mov_b32_e32 v11, v4
	v_lshl_add_u64 v[8:9], v[10:11], 0, v[8:9]
	v_add_co_u32_e32 v8, vcc, v8, v15
	v_mul_hi_u32 v13, v5, v12
	s_nop 0
	v_addc_co_u32_e32 v8, vcc, v9, v14, vcc
	v_mul_lo_u32 v10, v5, v12
	s_nop 0
	v_addc_co_u32_e32 v11, vcc, 0, v13, vcc
	v_mov_b32_e32 v9, v4
	v_lshl_add_u64 v[8:9], v[8:9], 0, v[10:11]
	v_add_co_u32_e32 v1, vcc, v1, v8
	v_mul_hi_u32 v10, v6, v1
	s_nop 0
	v_addc_co_u32_e32 v5, vcc, v5, v9, vcc
	v_mad_u64_u32 v[8:9], s[2:3], v6, v5, 0
	v_mov_b32_e32 v11, v4
	v_lshl_add_u64 v[8:9], v[10:11], 0, v[8:9]
	v_mad_u64_u32 v[12:13], s[2:3], v7, v1, 0
	v_add_co_u32_e32 v1, vcc, v8, v12
	v_mad_u64_u32 v[10:11], s[2:3], v7, v5, 0
	s_nop 0
	v_addc_co_u32_e32 v8, vcc, v9, v13, vcc
	v_mov_b32_e32 v9, v4
	s_nop 0
	v_addc_co_u32_e32 v11, vcc, 0, v11, vcc
	v_lshl_add_u64 v[8:9], v[8:9], 0, v[10:11]
	v_mul_lo_u32 v1, s19, v8
	v_mul_lo_u32 v5, s18, v9
	v_mad_u64_u32 v[10:11], s[2:3], s18, v8, 0
	v_add3_u32 v1, v11, v5, v1
	v_sub_u32_e32 v5, v7, v1
	v_mov_b32_e32 v11, s19
	v_sub_co_u32_e32 v14, vcc, v6, v10
	v_lshl_add_u64 v[12:13], v[8:9], 0, 1
	s_nop 0
	v_subb_co_u32_e64 v5, s[2:3], v5, v11, vcc
	v_subrev_co_u32_e64 v10, s[2:3], s18, v14
	v_subb_co_u32_e32 v1, vcc, v7, v1, vcc
	s_nop 0
	v_subbrev_co_u32_e64 v5, s[2:3], 0, v5, s[2:3]
	v_cmp_le_u32_e64 s[2:3], s19, v5
	v_cmp_le_u32_e32 vcc, s19, v1
	s_nop 0
	v_cndmask_b32_e64 v11, 0, -1, s[2:3]
	v_cmp_le_u32_e64 s[2:3], s18, v10
	s_nop 1
	v_cndmask_b32_e64 v10, 0, -1, s[2:3]
	v_cmp_eq_u32_e64 s[2:3], s19, v5
	s_nop 1
	v_cndmask_b32_e64 v5, v11, v10, s[2:3]
	v_lshl_add_u64 v[10:11], v[8:9], 0, 2
	v_cmp_ne_u32_e64 s[2:3], 0, v5
	s_nop 1
	v_cndmask_b32_e64 v5, v13, v11, s[2:3]
	v_cndmask_b32_e64 v11, 0, -1, vcc
	v_cmp_le_u32_e32 vcc, s18, v14
	s_nop 1
	v_cndmask_b32_e64 v13, 0, -1, vcc
	v_cmp_eq_u32_e32 vcc, s19, v1
	s_nop 1
	v_cndmask_b32_e32 v1, v11, v13, vcc
	v_cmp_ne_u32_e32 vcc, 0, v1
	v_cndmask_b32_e64 v1, v12, v10, s[2:3]
	s_nop 0
	v_cndmask_b32_e32 v9, v9, v5, vcc
	v_cndmask_b32_e32 v8, v8, v1, vcc
.LBB0_4:                                ;   in Loop: Header=BB0_2 Depth=1
	s_andn2_saveexec_b64 s[2:3], s[20:21]
	s_cbranch_execz .LBB0_6
; %bb.5:                                ;   in Loop: Header=BB0_2 Depth=1
	v_cvt_f32_u32_e32 v1, s18
	s_sub_i32 s20, 0, s18
	v_rcp_iflag_f32_e32 v1, v1
	s_nop 0
	v_mul_f32_e32 v1, 0x4f7ffffe, v1
	v_cvt_u32_f32_e32 v1, v1
	v_mul_lo_u32 v5, s20, v1
	v_mul_hi_u32 v5, v1, v5
	v_add_u32_e32 v1, v1, v5
	v_mul_hi_u32 v1, v6, v1
	v_mul_lo_u32 v5, v1, s18
	v_sub_u32_e32 v5, v6, v5
	v_add_u32_e32 v8, 1, v1
	v_subrev_u32_e32 v9, s18, v5
	v_cmp_le_u32_e32 vcc, s18, v5
	s_nop 1
	v_cndmask_b32_e32 v5, v5, v9, vcc
	v_cndmask_b32_e32 v1, v1, v8, vcc
	v_add_u32_e32 v8, 1, v1
	v_cmp_le_u32_e32 vcc, s18, v5
	v_mov_b32_e32 v9, v4
	s_nop 0
	v_cndmask_b32_e32 v8, v1, v8, vcc
.LBB0_6:                                ;   in Loop: Header=BB0_2 Depth=1
	s_or_b64 exec, exec, s[2:3]
	v_mad_u64_u32 v[10:11], s[2:3], v8, s18, 0
	s_load_dwordx2 s[2:3], s[12:13], 0x0
	v_mul_lo_u32 v1, v9, s18
	v_mul_lo_u32 v5, v8, s19
	v_add3_u32 v1, v11, v5, v1
	v_sub_co_u32_e32 v5, vcc, v6, v10
	s_add_u32 s14, s14, 1
	s_nop 0
	v_subb_co_u32_e32 v1, vcc, v7, v1, vcc
	s_addc_u32 s15, s15, 0
	s_waitcnt lgkmcnt(0)
	v_mul_lo_u32 v1, s2, v1
	v_mul_lo_u32 v6, s3, v5
	v_mad_u64_u32 v[2:3], s[2:3], s2, v5, v[2:3]
	s_add_u32 s12, s12, 8
	v_add3_u32 v3, v6, v3, v1
	s_addc_u32 s13, s13, 0
	v_mov_b64_e32 v[6:7], s[6:7]
	s_add_u32 s16, s16, 8
	v_cmp_ge_u64_e32 vcc, s[14:15], v[6:7]
	s_addc_u32 s17, s17, 0
	s_cbranch_vccnz .LBB0_9
; %bb.7:                                ;   in Loop: Header=BB0_2 Depth=1
	v_mov_b64_e32 v[6:7], v[8:9]
	s_branch .LBB0_2
.LBB0_8:
	v_mov_b64_e32 v[8:9], v[6:7]
.LBB0_9:
	s_lshl_b64 s[2:3], s[6:7], 3
	s_add_u32 s2, s10, s2
	s_addc_u32 s3, s11, s3
	s_load_dwordx2 s[6:7], s[2:3], 0x0
	s_load_dwordx2 s[10:11], s[0:1], 0x20
	s_mov_b32 s2, 0x253c826
                                        ; implicit-def: $vgpr34_vgpr35
                                        ; implicit-def: $vgpr26_vgpr27
                                        ; implicit-def: $vgpr38_vgpr39
                                        ; implicit-def: $vgpr18_vgpr19
                                        ; implicit-def: $vgpr22_vgpr23
                                        ; implicit-def: $vgpr10_vgpr11
                                        ; implicit-def: $vgpr30_vgpr31
                                        ; implicit-def: $vgpr14_vgpr15
                                        ; implicit-def: $vgpr6_vgpr7
	s_waitcnt lgkmcnt(0)
	v_mul_lo_u32 v1, s6, v9
	v_mul_lo_u32 v4, s7, v8
	v_mad_u64_u32 v[2:3], s[0:1], s6, v8, v[2:3]
	v_add3_u32 v3, v4, v3, v1
	v_mul_hi_u32 v1, v0, s2
	v_mul_u32_u24_e32 v1, 0x6e, v1
	v_cmp_gt_u64_e64 s[0:1], s[10:11], v[8:9]
	v_sub_u32_e32 v52, v0, v1
	v_lshl_add_u64 v[54:55], v[2:3], 4, s[8:9]
                                        ; implicit-def: $vgpr2_vgpr3
	s_and_saveexec_b64 s[2:3], s[0:1]
	s_cbranch_execz .LBB0_11
; %bb.10:
	v_mov_b32_e32 v53, 0
	v_lshl_add_u64 v[16:17], v[52:53], 4, v[54:55]
	v_add_co_u32_e32 v18, vcc, 0x2000, v16
	s_movk_i32 s6, 0x3000
	s_nop 0
	v_addc_co_u32_e32 v19, vcc, 0, v17, vcc
	v_add_co_u32_e32 v40, vcc, s6, v16
	s_movk_i32 s6, 0x1000
	s_nop 0
	v_addc_co_u32_e32 v41, vcc, 0, v17, vcc
	v_add_co_u32_e32 v42, vcc, s6, v16
	global_load_dwordx4 v[4:7], v[16:17], off
	global_load_dwordx4 v[0:3], v[16:17], off offset:1760
	global_load_dwordx4 v[12:15], v[18:19], off offset:608
	;; [unrolled: 1-line block ×3, first 2 shown]
	v_addc_co_u32_e32 v43, vcc, 0, v17, vcc
	global_load_dwordx4 v[28:31], v[18:19], off offset:2368
	global_load_dwordx4 v[20:23], v[40:41], off offset:32
	s_nop 0
	global_load_dwordx4 v[16:19], v[42:43], off offset:1184
	global_load_dwordx4 v[24:27], v[42:43], off offset:2944
	;; [unrolled: 1-line block ×4, first 2 shown]
.LBB0_11:
	s_or_b64 exec, exec, s[2:3]
	s_waitcnt vmcnt(7)
	v_add_f64 v[12:13], v[4:5], -v[12:13]
	v_add_f64 v[14:15], v[6:7], -v[14:15]
	v_fma_f64 v[4:5], v[4:5], 2.0, -v[12:13]
	v_fma_f64 v[6:7], v[6:7], 2.0, -v[14:15]
	s_waitcnt vmcnt(5)
	v_add_f64 v[28:29], v[0:1], -v[28:29]
	v_add_f64 v[30:31], v[2:3], -v[30:31]
	v_lshl_add_u32 v40, v52, 5, 0
	v_add_u32_e32 v108, 0x6e, v52
	v_fma_f64 v[0:1], v[0:1], 2.0, -v[28:29]
	v_fma_f64 v[2:3], v[2:3], 2.0, -v[30:31]
	ds_write_b128 v40, v[4:7]
	ds_write_b128 v40, v[12:15] offset:16
	v_lshl_add_u32 v4, v108, 5, 0
	s_waitcnt vmcnt(4)
	v_add_f64 v[20:21], v[8:9], -v[20:21]
	v_add_f64 v[22:23], v[10:11], -v[22:23]
	ds_write_b128 v4, v[0:3]
	ds_write_b128 v4, v[28:31] offset:16
	v_add_u32_e32 v4, 0xdc, v52
	v_fma_f64 v[8:9], v[8:9], 2.0, -v[20:21]
	v_fma_f64 v[10:11], v[10:11], 2.0, -v[22:23]
	s_waitcnt vmcnt(1)
	v_add_f64 v[36:37], v[16:17], -v[36:37]
	v_add_f64 v[38:39], v[18:19], -v[38:39]
	v_lshl_add_u32 v0, v4, 5, 0
	v_add_u32_e32 v5, 0x14a, v52
	v_fma_f64 v[16:17], v[16:17], 2.0, -v[36:37]
	v_fma_f64 v[18:19], v[18:19], 2.0, -v[38:39]
	s_waitcnt vmcnt(0)
	v_add_f64 v[32:33], v[24:25], -v[32:33]
	v_add_f64 v[34:35], v[26:27], -v[34:35]
	ds_write_b128 v0, v[8:11]
	ds_write_b128 v0, v[20:23] offset:16
	v_lshl_add_u32 v0, v5, 5, 0
	v_add_u32_e32 v6, 0x1b8, v52
	v_fma_f64 v[24:25], v[24:25], 2.0, -v[32:33]
	v_fma_f64 v[26:27], v[26:27], 2.0, -v[34:35]
	ds_write_b128 v0, v[16:19]
	ds_write_b128 v0, v[36:39] offset:16
	v_lshl_add_u32 v0, v6, 5, 0
	v_and_b32_e32 v68, 1, v52
	ds_write_b128 v0, v[24:27]
	ds_write_b128 v0, v[32:35] offset:16
	v_lshlrev_b32_e32 v0, 4, v68
	s_waitcnt lgkmcnt(0)
	s_barrier
	global_load_dwordx4 v[0:3], v0, s[4:5]
	v_lshlrev_b32_e32 v7, 4, v52
	v_sub_u32_e32 v53, v40, v7
	v_lshlrev_b32_e32 v71, 1, v4
	v_lshlrev_b32_e32 v72, 1, v5
	;; [unrolled: 1-line block ×3, first 2 shown]
	ds_read_b128 v[4:7], v53 offset:8800
	ds_read_b128 v[8:11], v53
	ds_read_b128 v[16:19], v53 offset:1760
	ds_read_b128 v[12:15], v53 offset:10560
	;; [unrolled: 1-line block ×8, first 2 shown]
	v_lshlrev_b32_e32 v69, 1, v52
	s_movk_i32 s2, 0xfc
	v_lshlrev_b32_e32 v70, 1, v108
	s_waitcnt lgkmcnt(0)
	s_barrier
	s_waitcnt vmcnt(0)
	v_mul_f64 v[44:45], v[6:7], v[2:3]
	v_mul_f64 v[48:49], v[14:15], v[2:3]
	;; [unrolled: 1-line block ×10, first 2 shown]
	v_fma_f64 v[2:3], v[4:5], v[0:1], -v[44:45]
	v_fma_f64 v[12:13], v[12:13], v[0:1], -v[48:49]
	;; [unrolled: 1-line block ×5, first 2 shown]
	v_fmac_f64_e32 v[46:47], v[6:7], v[0:1]
	v_add_f64 v[4:5], v[8:9], -v[2:3]
	v_add_f64 v[12:13], v[16:17], -v[12:13]
	;; [unrolled: 1-line block ×5, first 2 shown]
	v_fmac_f64_e32 v[50:51], v[14:15], v[0:1]
	v_fmac_f64_e32 v[58:59], v[22:23], v[0:1]
	;; [unrolled: 1-line block ×4, first 2 shown]
	v_add_f64 v[6:7], v[10:11], -v[46:47]
	v_fma_f64 v[0:1], v[8:9], 2.0, -v[4:5]
	v_fma_f64 v[8:9], v[16:17], 2.0, -v[12:13]
	;; [unrolled: 1-line block ×5, first 2 shown]
	v_and_or_b32 v40, v69, s2, v68
	v_fma_f64 v[2:3], v[10:11], 2.0, -v[6:7]
	v_lshl_add_u32 v40, v40, 4, 0
	s_movk_i32 s2, 0x1fc
	v_add_f64 v[14:15], v[18:19], -v[50:51]
	ds_write_b128 v40, v[0:3]
	ds_write_b128 v40, v[4:7] offset:32
	v_and_or_b32 v40, v70, s2, v68
	v_fma_f64 v[10:11], v[18:19], 2.0, -v[14:15]
	v_lshl_add_u32 v40, v40, 4, 0
	s_movk_i32 s2, 0x3fc
	v_add_f64 v[22:23], v[26:27], -v[58:59]
	ds_write_b128 v40, v[8:11]
	ds_write_b128 v40, v[12:15] offset:32
	v_and_or_b32 v40, v71, s2, v68
	v_fma_f64 v[18:19], v[26:27], 2.0, -v[22:23]
	v_lshl_add_u32 v40, v40, 4, 0
	v_add_f64 v[30:31], v[34:35], -v[62:63]
	ds_write_b128 v40, v[16:19]
	ds_write_b128 v40, v[20:23] offset:32
	v_and_or_b32 v40, v72, s2, v68
	v_fma_f64 v[26:27], v[34:35], 2.0, -v[30:31]
	v_lshl_add_u32 v40, v40, 4, 0
	s_movk_i32 s2, 0x7fc
	v_add_f64 v[38:39], v[42:43], -v[66:67]
	ds_write_b128 v40, v[24:27]
	ds_write_b128 v40, v[28:31] offset:32
	v_and_or_b32 v40, v73, s2, v68
	s_movk_i32 s2, 0x64
	v_fma_f64 v[34:35], v[42:43], 2.0, -v[38:39]
	v_lshl_add_u32 v40, v40, 4, 0
	v_cmp_gt_u32_e32 vcc, s2, v52
	ds_write_b128 v40, v[32:35]
	ds_write_b128 v40, v[36:39] offset:32
	s_waitcnt lgkmcnt(0)
	s_barrier
	s_waitcnt lgkmcnt(0)
                                        ; implicit-def: $vgpr42_vgpr43
	s_and_saveexec_b64 s[2:3], vcc
	s_cbranch_execz .LBB0_13
; %bb.12:
	ds_read_b128 v[0:3], v53
	ds_read_b128 v[4:7], v53 offset:1600
	ds_read_b128 v[8:11], v53 offset:3200
	ds_read_b128 v[12:15], v53 offset:4800
	ds_read_b128 v[16:19], v53 offset:6400
	ds_read_b128 v[20:23], v53 offset:8000
	ds_read_b128 v[24:27], v53 offset:9600
	ds_read_b128 v[28:31], v53 offset:11200
	ds_read_b128 v[32:35], v53 offset:12800
	ds_read_b128 v[36:39], v53 offset:14400
	ds_read_b128 v[40:43], v53 offset:16000
.LBB0_13:
	s_or_b64 exec, exec, s[2:3]
	s_waitcnt lgkmcnt(0)
	s_barrier
	s_and_saveexec_b64 s[2:3], vcc
	s_cbranch_execz .LBB0_15
; %bb.14:
	v_and_b32_e32 v109, 3, v52
	v_mul_u32_u24_e32 v44, 10, v109
	v_lshlrev_b32_e32 v56, 4, v44
	global_load_dwordx4 v[48:51], v56, s[4:5] offset:96
	global_load_dwordx4 v[44:47], v56, s[4:5] offset:112
	;; [unrolled: 1-line block ×10, first 2 shown]
	s_mov_b32 s10, 0x9bcd5057
	s_mov_b32 s6, 0x8764f0ba
	;; [unrolled: 1-line block ×30, first 2 shown]
	s_waitcnt vmcnt(9)
	v_mul_f64 v[56:57], v[20:21], v[50:51]
	v_mul_f64 v[102:103], v[22:23], v[50:51]
	s_waitcnt vmcnt(7)
	v_mul_f64 v[58:59], v[16:17], v[72:73]
	v_mul_f64 v[106:107], v[18:19], v[72:73]
	;; [unrolled: 1-line block ×4, first 2 shown]
	s_waitcnt vmcnt(6)
	v_mul_f64 v[46:47], v[28:29], v[76:77]
	v_mul_f64 v[76:77], v[30:31], v[76:77]
	s_waitcnt vmcnt(1)
	v_mul_f64 v[72:73], v[4:5], v[96:97]
	s_waitcnt vmcnt(0)
	v_mul_f64 v[66:67], v[40:41], v[100:101]
	v_mul_f64 v[60:61], v[32:33], v[84:85]
	;; [unrolled: 1-line block ×8, first 2 shown]
	v_fmac_f64_e32 v[72:73], v[6:7], v[94:95]
	v_fmac_f64_e32 v[66:67], v[42:43], v[98:99]
	v_mul_f64 v[62:63], v[12:13], v[80:81]
	v_mul_f64 v[88:89], v[10:11], v[88:89]
	v_fmac_f64_e32 v[50:51], v[26:27], v[44:45]
	v_fmac_f64_e32 v[46:47], v[30:31], v[74:75]
	v_fma_f64 v[26:27], v[28:29], v[74:75], -v[76:77]
	v_fma_f64 v[28:29], v[32:33], v[82:83], -v[84:85]
	v_fmac_f64_e32 v[68:69], v[10:11], v[86:87]
	v_fmac_f64_e32 v[64:65], v[38:39], v[90:91]
	v_fma_f64 v[30:31], v[36:37], v[90:91], -v[92:93]
	v_fma_f64 v[36:37], v[4:5], v[94:95], -v[96:97]
	;; [unrolled: 1-line block ×3, first 2 shown]
	v_add_f64 v[94:95], v[72:73], v[66:67]
	v_mul_f64 v[80:81], v[14:15], v[80:81]
	v_fmac_f64_e32 v[62:63], v[14:15], v[78:79]
	v_fmac_f64_e32 v[60:61], v[34:35], v[82:83]
	v_fma_f64 v[34:35], v[8:9], v[86:87], -v[88:89]
	v_add_f64 v[92:93], v[68:69], v[64:65]
	v_add_f64 v[40:41], v[36:37], -v[32:33]
	v_mul_f64 v[8:9], v[94:95], s[10:11]
	v_fma_f64 v[24:25], v[24:25], v[44:45], -v[104:105]
	v_fmac_f64_e32 v[58:59], v[18:19], v[70:71]
	v_fma_f64 v[44:45], v[16:17], v[70:71], -v[106:107]
	v_fma_f64 v[70:71], v[12:13], v[78:79], -v[80:81]
	v_add_f64 v[38:39], v[34:35], -v[30:31]
	v_add_f64 v[88:89], v[62:63], v[60:61]
	v_mul_f64 v[10:11], v[92:93], s[6:7]
	v_fma_f64 v[4:5], s[14:15], v[40:41], v[8:9]
	v_add_f64 v[42:43], v[70:71], -v[28:29]
	v_add_f64 v[86:87], v[58:59], v[46:47]
	v_mul_f64 v[12:13], v[88:89], s[12:13]
	v_fma_f64 v[6:7], s[8:9], v[38:39], v[10:11]
	v_add_f64 v[4:5], v[2:3], v[4:5]
	v_add_f64 v[76:77], v[44:45], -v[26:27]
	v_mul_f64 v[14:15], v[86:87], s[16:17]
	v_fma_f64 v[16:17], s[20:21], v[42:43], v[12:13]
	v_add_f64 v[4:5], v[6:7], v[4:5]
	v_add_f64 v[90:91], v[72:73], -v[66:67]
	v_fma_f64 v[18:19], s[18:19], v[76:77], v[14:15]
	v_add_f64 v[4:5], v[16:17], v[4:5]
	v_add_f64 v[74:75], v[36:37], v[32:33]
	v_mul_f64 v[16:17], v[90:91], s[22:23]
	v_add_f64 v[100:101], v[68:69], -v[64:65]
	v_add_f64 v[4:5], v[18:19], v[4:5]
	v_fma_f64 v[6:7], s[10:11], v[74:75], v[16:17]
	v_add_f64 v[78:79], v[34:35], v[30:31]
	v_mul_f64 v[18:19], v[100:101], s[24:25]
	v_fmac_f64_e32 v[8:9], s[22:23], v[40:41]
	v_fmac_f64_e32 v[56:57], v[22:23], v[48:49]
	v_fma_f64 v[48:49], v[20:21], v[48:49], -v[102:103]
	v_add_f64 v[6:7], v[0:1], v[6:7]
	v_fma_f64 v[20:21], s[6:7], v[78:79], v[18:19]
	v_add_f64 v[98:99], v[62:63], -v[60:61]
	v_fmac_f64_e32 v[10:11], s[24:25], v[38:39]
	v_add_f64 v[8:9], v[2:3], v[8:9]
	v_add_f64 v[6:7], v[20:21], v[6:7]
	;; [unrolled: 1-line block ×3, first 2 shown]
	v_mul_f64 v[20:21], v[98:99], s[28:29]
	v_add_f64 v[8:9], v[10:11], v[8:9]
	v_fmac_f64_e32 v[12:13], s[28:29], v[42:43]
	v_fma_f64 v[22:23], s[12:13], v[80:81], v[20:21]
	v_add_f64 v[102:103], v[58:59], -v[46:47]
	v_add_f64 v[8:9], v[12:13], v[8:9]
	v_fma_f64 v[12:13], v[74:75], s[10:11], -v[16:17]
	v_add_f64 v[6:7], v[22:23], v[6:7]
	v_add_f64 v[82:83], v[44:45], v[26:27]
	v_mul_f64 v[22:23], v[102:103], s[34:35]
	v_add_f64 v[104:105], v[56:57], v[50:51]
	v_fma_f64 v[10:11], v[78:79], s[6:7], -v[18:19]
	v_add_f64 v[12:13], v[0:1], v[12:13]
	v_fma_f64 v[84:85], s[16:17], v[82:83], v[22:23]
	v_mul_f64 v[112:113], v[104:105], s[26:27]
	v_add_f64 v[96:97], v[48:49], -v[24:25]
	v_add_f64 v[106:107], v[56:57], -v[50:51]
	v_fmac_f64_e32 v[14:15], s[34:35], v[76:77]
	v_add_f64 v[10:11], v[10:11], v[12:13]
	v_fma_f64 v[12:13], v[80:81], s[12:13], -v[20:21]
	v_add_f64 v[110:111], v[84:85], v[6:7]
	v_fma_f64 v[6:7], s[36:37], v[96:97], v[112:113]
	v_add_f64 v[84:85], v[48:49], v[24:25]
	v_mul_f64 v[114:115], v[106:107], s[30:31]
	v_add_f64 v[8:9], v[14:15], v[8:9]
	v_add_f64 v[10:11], v[12:13], v[10:11]
	v_fma_f64 v[12:13], v[82:83], s[16:17], -v[22:23]
	v_fmac_f64_e32 v[112:113], s[30:31], v[96:97]
	v_add_f64 v[12:13], v[12:13], v[10:11]
	v_add_f64 v[10:11], v[112:113], v[8:9]
	v_fma_f64 v[8:9], v[84:85], s[26:27], -v[114:115]
	v_mul_f64 v[16:17], v[94:95], s[12:13]
	v_add_f64 v[8:9], v[8:9], v[12:13]
	v_fma_f64 v[12:13], s[20:21], v[40:41], v[16:17]
	v_mul_f64 v[18:19], v[92:93], s[26:27]
	v_add_f64 v[12:13], v[2:3], v[12:13]
	v_fma_f64 v[14:15], s[30:31], v[38:39], v[18:19]
	v_mul_f64 v[20:21], v[88:89], s[6:7]
	v_add_f64 v[6:7], v[6:7], v[4:5]
	v_fma_f64 v[4:5], s[26:27], v[84:85], v[114:115]
	v_add_f64 v[12:13], v[14:15], v[12:13]
	v_fma_f64 v[14:15], s[24:25], v[42:43], v[20:21]
	v_mul_f64 v[22:23], v[86:87], s[10:11]
	v_add_f64 v[4:5], v[4:5], v[110:111]
	v_add_f64 v[12:13], v[14:15], v[12:13]
	v_fma_f64 v[14:15], s[14:15], v[76:77], v[22:23]
	v_mul_f64 v[110:111], v[90:91], s[28:29]
	v_add_f64 v[12:13], v[14:15], v[12:13]
	v_fma_f64 v[14:15], s[12:13], v[74:75], v[110:111]
	v_mul_f64 v[112:113], v[100:101], s[36:37]
	v_fmac_f64_e32 v[16:17], s[28:29], v[40:41]
	v_add_f64 v[14:15], v[0:1], v[14:15]
	v_fma_f64 v[114:115], s[26:27], v[78:79], v[112:113]
	v_fmac_f64_e32 v[18:19], s[36:37], v[38:39]
	v_add_f64 v[16:17], v[2:3], v[16:17]
	v_add_f64 v[14:15], v[114:115], v[14:15]
	v_mul_f64 v[114:115], v[98:99], s[8:9]
	v_add_f64 v[16:17], v[18:19], v[16:17]
	v_fmac_f64_e32 v[20:21], s[8:9], v[42:43]
	v_fma_f64 v[116:117], s[6:7], v[80:81], v[114:115]
	v_add_f64 v[16:17], v[20:21], v[16:17]
	v_fma_f64 v[20:21], v[74:75], s[12:13], -v[110:111]
	v_add_f64 v[14:15], v[116:117], v[14:15]
	v_mul_f64 v[116:117], v[102:103], s[22:23]
	v_fma_f64 v[18:19], v[78:79], s[26:27], -v[112:113]
	v_add_f64 v[20:21], v[0:1], v[20:21]
	v_fma_f64 v[118:119], s[10:11], v[82:83], v[116:117]
	v_mul_f64 v[120:121], v[104:105], s[16:17]
	v_fmac_f64_e32 v[22:23], s[22:23], v[76:77]
	v_add_f64 v[18:19], v[18:19], v[20:21]
	v_fma_f64 v[20:21], v[80:81], s[6:7], -v[114:115]
	v_add_f64 v[118:119], v[118:119], v[14:15]
	v_fma_f64 v[14:15], s[18:19], v[96:97], v[120:121]
	v_mul_f64 v[122:123], v[106:107], s[34:35]
	v_add_f64 v[16:17], v[22:23], v[16:17]
	v_add_f64 v[18:19], v[20:21], v[18:19]
	v_fma_f64 v[20:21], v[82:83], s[10:11], -v[116:117]
	v_fmac_f64_e32 v[120:121], s[34:35], v[96:97]
	v_add_f64 v[20:21], v[20:21], v[18:19]
	v_add_f64 v[18:19], v[120:121], v[16:17]
	v_fma_f64 v[16:17], v[84:85], s[16:17], -v[122:123]
	v_mul_f64 v[110:111], v[94:95], s[26:27]
	v_add_f64 v[16:17], v[16:17], v[20:21]
	v_fma_f64 v[20:21], s[36:37], v[40:41], v[110:111]
	v_mul_f64 v[112:113], v[92:93], s[10:11]
	v_add_f64 v[20:21], v[2:3], v[20:21]
	v_fma_f64 v[22:23], s[22:23], v[38:39], v[112:113]
	v_mul_f64 v[114:115], v[88:89], s[16:17]
	v_add_f64 v[14:15], v[14:15], v[12:13]
	v_fma_f64 v[12:13], s[16:17], v[84:85], v[122:123]
	v_add_f64 v[20:21], v[22:23], v[20:21]
	v_fma_f64 v[22:23], s[18:19], v[42:43], v[114:115]
	v_mul_f64 v[116:117], v[86:87], s[6:7]
	v_add_f64 v[12:13], v[12:13], v[118:119]
	v_add_f64 v[20:21], v[22:23], v[20:21]
	v_fma_f64 v[22:23], s[24:25], v[76:77], v[116:117]
	v_mul_f64 v[118:119], v[90:91], s[30:31]
	v_add_f64 v[20:21], v[22:23], v[20:21]
	v_fma_f64 v[22:23], s[26:27], v[74:75], v[118:119]
	v_mul_f64 v[120:121], v[100:101], s[14:15]
	v_fmac_f64_e32 v[110:111], s[30:31], v[40:41]
	v_add_f64 v[22:23], v[0:1], v[22:23]
	v_fma_f64 v[122:123], s[10:11], v[78:79], v[120:121]
	v_fmac_f64_e32 v[112:113], s[14:15], v[38:39]
	v_add_f64 v[110:111], v[2:3], v[110:111]
	v_add_f64 v[22:23], v[122:123], v[22:23]
	v_mul_f64 v[122:123], v[98:99], s[34:35]
	v_add_f64 v[110:111], v[112:113], v[110:111]
	v_fmac_f64_e32 v[114:115], s[34:35], v[42:43]
	v_fma_f64 v[124:125], s[16:17], v[80:81], v[122:123]
	v_add_f64 v[110:111], v[114:115], v[110:111]
	v_fma_f64 v[114:115], v[74:75], s[26:27], -v[118:119]
	v_add_f64 v[22:23], v[124:125], v[22:23]
	v_mul_f64 v[124:125], v[102:103], s[8:9]
	v_fma_f64 v[112:113], v[78:79], s[10:11], -v[120:121]
	v_add_f64 v[114:115], v[0:1], v[114:115]
	v_fma_f64 v[126:127], s[6:7], v[82:83], v[124:125]
	v_mul_f64 v[128:129], v[104:105], s[12:13]
	v_fmac_f64_e32 v[116:117], s[8:9], v[76:77]
	v_add_f64 v[112:113], v[112:113], v[114:115]
	v_fma_f64 v[114:115], v[80:81], s[16:17], -v[122:123]
	v_add_f64 v[126:127], v[126:127], v[22:23]
	v_fma_f64 v[22:23], s[20:21], v[96:97], v[128:129]
	;; [unrolled: 50-line block ×3, first 2 shown]
	v_mul_f64 v[138:139], v[106:107], s[24:25]
	v_add_f64 v[118:119], v[124:125], v[118:119]
	v_add_f64 v[120:121], v[122:123], v[120:121]
	v_fma_f64 v[122:123], v[82:83], s[26:27], -v[132:133]
	v_fmac_f64_e32 v[136:137], s[24:25], v[96:97]
	v_add_f64 v[122:123], v[122:123], v[120:121]
	v_add_f64 v[120:121], v[136:137], v[118:119]
	v_fma_f64 v[118:119], v[84:85], s[6:7], -v[138:139]
	v_mul_f64 v[94:95], v[94:95], s[6:7]
	v_add_f64 v[118:119], v[118:119], v[122:123]
	v_mul_f64 v[92:93], v[92:93], s[16:17]
	v_fma_f64 v[122:123], s[24:25], v[40:41], v[94:95]
	v_add_f64 v[122:123], v[2:3], v[122:123]
	v_fma_f64 v[124:125], s[34:35], v[38:39], v[92:93]
	v_add_f64 v[122:123], v[124:125], v[122:123]
	v_mul_f64 v[124:125], v[88:89], s[26:27]
	v_fma_f64 v[88:89], s[36:37], v[42:43], v[124:125]
	v_add_f64 v[88:89], v[88:89], v[122:123]
	v_mul_f64 v[122:123], v[86:87], s[12:13]
	v_fma_f64 v[86:87], s[20:21], v[76:77], v[122:123]
	v_mul_f64 v[90:91], v[90:91], s[8:9]
	v_add_f64 v[86:87], v[86:87], v[88:89]
	v_fma_f64 v[88:89], s[6:7], v[74:75], v[90:91]
	v_fmac_f64_e32 v[94:95], s[8:9], v[40:41]
	v_fma_f64 v[74:75], v[74:75], s[6:7], -v[90:91]
	v_add_f64 v[88:89], v[0:1], v[88:89]
	v_fmac_f64_e32 v[92:93], s[18:19], v[38:39]
	v_add_f64 v[38:39], v[2:3], v[94:95]
	v_add_f64 v[74:75], v[0:1], v[74:75]
	;; [unrolled: 1-line block ×10, first 2 shown]
	v_mul_f64 v[100:101], v[100:101], s[18:19]
	v_add_f64 v[2:3], v[2:3], v[56:57]
	v_add_f64 v[0:1], v[0:1], v[48:49]
	v_fma_f64 v[126:127], s[16:17], v[78:79], v[100:101]
	v_mul_f64 v[98:99], v[98:99], s[30:31]
	v_add_f64 v[2:3], v[2:3], v[50:51]
	v_add_f64 v[0:1], v[0:1], v[24:25]
	;; [unrolled: 1-line block ×3, first 2 shown]
	v_fma_f64 v[126:127], s[26:27], v[80:81], v[98:99]
	v_mul_f64 v[102:103], v[102:103], s[28:29]
	v_fma_f64 v[78:79], v[78:79], s[16:17], -v[100:101]
	v_add_f64 v[2:3], v[2:3], v[46:47]
	v_add_f64 v[0:1], v[0:1], v[26:27]
	v_lshrrev_b32_e32 v24, 2, v52
	v_add_f64 v[88:89], v[126:127], v[88:89]
	v_fma_f64 v[126:127], s[12:13], v[82:83], v[102:103]
	v_mul_f64 v[104:105], v[104:105], s[10:11]
	v_fmac_f64_e32 v[122:123], s[28:29], v[76:77]
	v_fmac_f64_e32 v[124:125], s[30:31], v[42:43]
	v_add_f64 v[38:39], v[92:93], v[38:39]
	v_fma_f64 v[76:77], v[80:81], s[26:27], -v[98:99]
	v_add_f64 v[74:75], v[78:79], v[74:75]
	v_add_f64 v[2:3], v[2:3], v[60:61]
	;; [unrolled: 1-line block ×3, first 2 shown]
	v_mul_u32_u24_e32 v24, 44, v24
	v_add_f64 v[126:127], v[126:127], v[88:89]
	v_fma_f64 v[88:89], s[14:15], v[96:97], v[104:105]
	v_mul_f64 v[106:107], v[106:107], s[22:23]
	v_add_f64 v[38:39], v[124:125], v[38:39]
	v_fma_f64 v[40:41], v[82:83], s[12:13], -v[102:103]
	v_add_f64 v[74:75], v[76:77], v[74:75]
	v_add_f64 v[2:3], v[2:3], v[64:65]
	;; [unrolled: 1-line block ×3, first 2 shown]
	v_or_b32_e32 v24, v24, v109
	v_add_f64 v[116:117], v[116:117], v[114:115]
	v_fma_f64 v[114:115], s[6:7], v[84:85], v[138:139]
	v_add_f64 v[88:89], v[88:89], v[86:87]
	v_fma_f64 v[86:87], s[10:11], v[84:85], v[106:107]
	v_fmac_f64_e32 v[104:105], s[22:23], v[96:97]
	v_add_f64 v[38:39], v[122:123], v[38:39]
	v_fma_f64 v[42:43], v[84:85], s[10:11], -v[106:107]
	v_add_f64 v[74:75], v[40:41], v[74:75]
	v_add_f64 v[2:3], v[2:3], v[66:67]
	;; [unrolled: 1-line block ×3, first 2 shown]
	v_lshl_add_u32 v24, v24, 4, 0
	v_add_f64 v[114:115], v[114:115], v[134:135]
	v_add_f64 v[86:87], v[86:87], v[126:127]
	;; [unrolled: 1-line block ×4, first 2 shown]
	ds_write_b128 v24, v[0:3]
	ds_write_b128 v24, v[38:41] offset:64
	ds_write_b128 v24, v[118:121] offset:128
	;; [unrolled: 1-line block ×10, first 2 shown]
.LBB0_15:
	s_or_b64 exec, exec, s[2:3]
	s_movk_i32 s2, 0xbb
	v_mul_lo_u16_sdwa v0, v52, s2 dst_sel:DWORD dst_unused:UNUSED_PAD src0_sel:BYTE_0 src1_sel:DWORD
	v_lshrrev_b16_e32 v94, 13, v0
	v_mul_lo_u16_e32 v0, 44, v94
	v_sub_u16_e32 v95, v52, v0
	v_mov_b32_e32 v0, 6
	v_lshlrev_b32_sdwa v1, v0, v95 dst_sel:DWORD dst_unused:UNUSED_PAD src0_sel:DWORD src1_sel:BYTE_0
	s_waitcnt lgkmcnt(0)
	s_barrier
	global_load_dwordx4 v[8:11], v1, s[4:5] offset:688
	global_load_dwordx4 v[12:15], v1, s[4:5] offset:672
	;; [unrolled: 1-line block ×4, first 2 shown]
	v_mul_lo_u16_sdwa v1, v108, s2 dst_sel:DWORD dst_unused:UNUSED_PAD src0_sel:BYTE_0 src1_sel:DWORD
	v_lshrrev_b16_e32 v96, 13, v1
	v_mul_lo_u16_e32 v1, 44, v96
	v_sub_u16_e32 v97, v108, v1
	v_lshlrev_b32_sdwa v0, v0, v97 dst_sel:DWORD dst_unused:UNUSED_PAD src0_sel:DWORD src1_sel:BYTE_0
	global_load_dwordx4 v[24:27], v0, s[4:5] offset:672
	global_load_dwordx4 v[28:31], v0, s[4:5] offset:688
	;; [unrolled: 1-line block ×4, first 2 shown]
	ds_read_b128 v[4:7], v53
	ds_read_b128 v[0:3], v53 offset:1760
	ds_read_b128 v[40:43], v53 offset:3520
	;; [unrolled: 1-line block ×9, first 2 shown]
	s_mov_b32 s2, 0x134454ff
	s_mov_b32 s3, 0x3fee6f0e
	;; [unrolled: 1-line block ×10, first 2 shown]
	s_waitcnt lgkmcnt(0)
	s_barrier
	s_waitcnt vmcnt(7)
	v_mul_f64 v[80:81], v[48:49], v[10:11]
	s_waitcnt vmcnt(6)
	v_mul_f64 v[76:77], v[42:43], v[14:15]
	v_mul_f64 v[78:79], v[40:41], v[14:15]
	;; [unrolled: 1-line block ×3, first 2 shown]
	s_waitcnt vmcnt(4)
	v_mul_f64 v[10:11], v[62:63], v[22:23]
	v_mul_f64 v[82:83], v[60:61], v[22:23]
	;; [unrolled: 1-line block ×4, first 2 shown]
	s_waitcnt vmcnt(3)
	v_mul_f64 v[18:19], v[46:47], v[26:27]
	v_mul_f64 v[86:87], v[44:45], v[26:27]
	s_waitcnt vmcnt(2)
	v_mul_f64 v[26:27], v[58:59], v[30:31]
	v_mul_f64 v[88:89], v[56:57], v[30:31]
	s_waitcnt vmcnt(1)
	v_mul_f64 v[30:31], v[66:67], v[34:35]
	v_mul_f64 v[90:91], v[64:65], v[34:35]
	s_waitcnt vmcnt(0)
	v_mul_f64 v[34:35], v[74:75], v[38:39]
	v_mul_f64 v[92:93], v[72:73], v[38:39]
	v_fma_f64 v[38:39], v[40:41], v[12:13], -v[76:77]
	v_fmac_f64_e32 v[78:79], v[42:43], v[12:13]
	v_fma_f64 v[40:41], v[48:49], v[8:9], -v[14:15]
	v_fma_f64 v[42:43], v[60:61], v[20:21], -v[10:11]
	v_fmac_f64_e32 v[80:81], v[50:51], v[8:9]
	v_fma_f64 v[14:15], v[68:69], v[16:17], -v[22:23]
	v_fmac_f64_e32 v[84:85], v[70:71], v[16:17]
	v_add_f64 v[8:9], v[4:5], v[38:39]
	v_add_f64 v[10:11], v[40:41], v[42:43]
	v_fmac_f64_e32 v[82:83], v[62:63], v[20:21]
	v_fma_f64 v[44:45], v[44:45], v[24:25], -v[18:19]
	v_fmac_f64_e32 v[86:87], v[46:47], v[24:25]
	v_add_f64 v[18:19], v[78:79], -v[84:85]
	v_add_f64 v[12:13], v[38:39], -v[40:41]
	;; [unrolled: 1-line block ×3, first 2 shown]
	v_add_f64 v[24:25], v[8:9], v[40:41]
	v_fma_f64 v[8:9], -0.5, v[10:11], v[4:5]
	v_add_f64 v[22:23], v[80:81], -v[82:83]
	v_add_f64 v[20:21], v[38:39], v[14:15]
	v_add_f64 v[10:11], v[12:13], v[16:17]
	v_fma_f64 v[12:13], s[2:3], v[18:19], v[8:9]
	v_fmac_f64_e32 v[8:9], s[10:11], v[18:19]
	v_fmac_f64_e32 v[12:13], s[6:7], v[22:23]
	;; [unrolled: 1-line block ×3, first 2 shown]
	v_fmac_f64_e32 v[4:5], -0.5, v[20:21]
	v_add_f64 v[16:17], v[24:25], v[42:43]
	v_fmac_f64_e32 v[12:13], s[8:9], v[10:11]
	v_fmac_f64_e32 v[8:9], s[8:9], v[10:11]
	v_fma_f64 v[20:21], s[10:11], v[22:23], v[4:5]
	v_add_f64 v[10:11], v[40:41], -v[38:39]
	v_add_f64 v[24:25], v[42:43], -v[14:15]
	v_fmac_f64_e32 v[4:5], s[2:3], v[22:23]
	v_fmac_f64_e32 v[20:21], s[6:7], v[18:19]
	v_add_f64 v[10:11], v[10:11], v[24:25]
	v_fmac_f64_e32 v[4:5], s[12:13], v[18:19]
	v_fmac_f64_e32 v[20:21], s[8:9], v[10:11]
	;; [unrolled: 1-line block ×3, first 2 shown]
	v_add_f64 v[10:11], v[6:7], v[78:79]
	v_add_f64 v[10:11], v[10:11], v[80:81]
	;; [unrolled: 1-line block ×5, first 2 shown]
	v_fma_f64 v[10:11], -0.5, v[10:11], v[6:7]
	v_add_f64 v[24:25], v[38:39], -v[14:15]
	v_fma_f64 v[46:47], v[56:57], v[28:29], -v[26:27]
	v_fmac_f64_e32 v[88:89], v[58:59], v[28:29]
	v_add_f64 v[16:17], v[16:17], v[14:15]
	v_fma_f64 v[14:15], s[10:11], v[24:25], v[10:11]
	v_add_f64 v[26:27], v[40:41], -v[42:43]
	v_add_f64 v[22:23], v[78:79], -v[80:81]
	;; [unrolled: 1-line block ×3, first 2 shown]
	v_fmac_f64_e32 v[10:11], s[2:3], v[24:25]
	v_fmac_f64_e32 v[14:15], s[12:13], v[26:27]
	v_add_f64 v[22:23], v[22:23], v[28:29]
	v_fmac_f64_e32 v[10:11], s[6:7], v[26:27]
	v_fmac_f64_e32 v[14:15], s[8:9], v[22:23]
	;; [unrolled: 1-line block ×3, first 2 shown]
	v_add_f64 v[22:23], v[78:79], v[84:85]
	v_fmac_f64_e32 v[6:7], -0.5, v[22:23]
	v_fma_f64 v[48:49], v[64:65], v[32:33], -v[30:31]
	v_fma_f64 v[22:23], s[2:3], v[26:27], v[6:7]
	v_add_f64 v[28:29], v[80:81], -v[78:79]
	v_add_f64 v[30:31], v[82:83], -v[84:85]
	v_fmac_f64_e32 v[6:7], s[10:11], v[26:27]
	v_fmac_f64_e32 v[92:93], v[74:75], v[36:37]
	;; [unrolled: 1-line block ×3, first 2 shown]
	v_add_f64 v[28:29], v[28:29], v[30:31]
	v_fmac_f64_e32 v[6:7], s[6:7], v[24:25]
	v_add_f64 v[26:27], v[46:47], v[48:49]
	v_fmac_f64_e32 v[90:91], v[66:67], v[32:33]
	v_fma_f64 v[34:35], v[72:73], v[36:37], -v[34:35]
	v_fmac_f64_e32 v[22:23], s[8:9], v[28:29]
	v_fmac_f64_e32 v[6:7], s[8:9], v[28:29]
	v_fma_f64 v[28:29], -0.5, v[26:27], v[0:1]
	v_add_f64 v[26:27], v[86:87], -v[92:93]
	v_fma_f64 v[32:33], s[2:3], v[26:27], v[28:29]
	v_add_f64 v[30:31], v[88:89], -v[90:91]
	v_add_f64 v[36:37], v[44:45], -v[46:47]
	;; [unrolled: 1-line block ×3, first 2 shown]
	v_fmac_f64_e32 v[28:29], s[10:11], v[26:27]
	v_fmac_f64_e32 v[32:33], s[6:7], v[30:31]
	v_add_f64 v[36:37], v[36:37], v[38:39]
	v_fmac_f64_e32 v[28:29], s[12:13], v[30:31]
	v_fmac_f64_e32 v[32:33], s[8:9], v[36:37]
	;; [unrolled: 1-line block ×3, first 2 shown]
	v_add_f64 v[36:37], v[44:45], v[34:35]
	v_add_f64 v[24:25], v[0:1], v[44:45]
	v_fmac_f64_e32 v[0:1], -0.5, v[36:37]
	v_add_f64 v[24:25], v[24:25], v[46:47]
	v_fma_f64 v[36:37], s[10:11], v[30:31], v[0:1]
	v_add_f64 v[38:39], v[46:47], -v[44:45]
	v_add_f64 v[40:41], v[48:49], -v[34:35]
	v_fmac_f64_e32 v[0:1], s[2:3], v[30:31]
	v_add_f64 v[30:31], v[88:89], v[90:91]
	v_add_f64 v[24:25], v[24:25], v[48:49]
	v_fmac_f64_e32 v[36:37], s[6:7], v[26:27]
	v_add_f64 v[38:39], v[38:39], v[40:41]
	v_fmac_f64_e32 v[0:1], s[12:13], v[26:27]
	v_fma_f64 v[30:31], -0.5, v[30:31], v[2:3]
	v_add_f64 v[40:41], v[44:45], -v[34:35]
	v_add_f64 v[24:25], v[24:25], v[34:35]
	v_fmac_f64_e32 v[36:37], s[8:9], v[38:39]
	v_fmac_f64_e32 v[0:1], s[8:9], v[38:39]
	v_fma_f64 v[34:35], s[10:11], v[40:41], v[30:31]
	v_add_f64 v[42:43], v[46:47], -v[48:49]
	v_add_f64 v[38:39], v[86:87], -v[88:89]
	v_add_f64 v[44:45], v[92:93], -v[90:91]
	v_fmac_f64_e32 v[30:31], s[2:3], v[40:41]
	v_fmac_f64_e32 v[34:35], s[12:13], v[42:43]
	v_add_f64 v[38:39], v[38:39], v[44:45]
	v_fmac_f64_e32 v[30:31], s[6:7], v[42:43]
	v_fmac_f64_e32 v[34:35], s[8:9], v[38:39]
	;; [unrolled: 1-line block ×3, first 2 shown]
	v_add_f64 v[38:39], v[86:87], v[92:93]
	v_add_f64 v[26:27], v[2:3], v[86:87]
	v_fmac_f64_e32 v[2:3], -0.5, v[38:39]
	v_fma_f64 v[38:39], s[2:3], v[42:43], v[2:3]
	v_fmac_f64_e32 v[2:3], s[10:11], v[42:43]
	v_fmac_f64_e32 v[38:39], s[12:13], v[40:41]
	;; [unrolled: 1-line block ×3, first 2 shown]
	v_mov_b32_e32 v41, 4
	v_mul_u32_u24_e32 v40, 0xdc0, v94
	v_lshlrev_b32_sdwa v42, v41, v95 dst_sel:DWORD dst_unused:UNUSED_PAD src0_sel:DWORD src1_sel:BYTE_0
	v_add_f64 v[26:27], v[26:27], v[88:89]
	v_add3_u32 v40, 0, v40, v42
	v_add_f64 v[26:27], v[26:27], v[90:91]
	v_add_f64 v[44:45], v[88:89], -v[86:87]
	v_add_f64 v[46:47], v[90:91], -v[92:93]
	ds_write_b128 v40, v[16:19]
	ds_write_b128 v40, v[12:15] offset:704
	ds_write_b128 v40, v[20:23] offset:1408
	;; [unrolled: 1-line block ×4, first 2 shown]
	v_mul_u32_u24_e32 v4, 0xdc0, v96
	v_lshlrev_b32_sdwa v5, v41, v97 dst_sel:DWORD dst_unused:UNUSED_PAD src0_sel:DWORD src1_sel:BYTE_0
	v_add_f64 v[26:27], v[26:27], v[92:93]
	v_add_f64 v[44:45], v[44:45], v[46:47]
	v_add3_u32 v4, 0, v4, v5
	v_fmac_f64_e32 v[38:39], s[8:9], v[44:45]
	v_fmac_f64_e32 v[2:3], s[8:9], v[44:45]
	ds_write_b128 v4, v[24:27]
	ds_write_b128 v4, v[32:35] offset:704
	ds_write_b128 v4, v[36:39] offset:1408
	ds_write_b128 v4, v[0:3] offset:2112
	ds_write_b128 v4, v[28:31] offset:2816
	s_waitcnt lgkmcnt(0)
	s_barrier
	s_and_saveexec_b64 s[14:15], s[0:1]
	s_cbranch_execz .LBB0_17
; %bb.16:
	v_lshlrev_b32_e32 v20, 2, v108
	v_mov_b32_e32 v21, 0
	v_lshl_add_u64 v[16:17], v[20:21], 4, s[4:5]
	global_load_dwordx4 v[0:3], v[16:17], off offset:3504
	global_load_dwordx4 v[8:11], v[16:17], off offset:3488
	;; [unrolled: 1-line block ×4, first 2 shown]
	v_lshlrev_b32_e32 v20, 2, v52
	v_lshl_add_u64 v[50:51], v[20:21], 4, s[4:5]
	ds_read_b128 v[16:19], v53 offset:8800
	ds_read_b128 v[22:25], v53 offset:7040
	;; [unrolled: 1-line block ×6, first 2 shown]
	global_load_dwordx4 v[42:45], v[50:51], off offset:3504
	global_load_dwordx4 v[46:49], v[50:51], off offset:3488
	ds_read_b128 v[56:59], v53 offset:15840
	ds_read_b128 v[60:63], v53 offset:14080
	global_load_dwordx4 v[64:67], v[50:51], off offset:3536
	global_load_dwordx4 v[68:71], v[50:51], off offset:3520
	ds_read_b128 v[72:75], v53 offset:1760
	ds_read_b128 v[76:79], v53
	v_mov_b32_e32 v53, v21
	s_movk_i32 s0, 0x1000
	v_lshrrev_b32_e32 v20, 2, v108
	s_waitcnt vmcnt(7) lgkmcnt(9)
	v_mul_f64 v[50:51], v[0:1], v[18:19]
	s_waitcnt vmcnt(6) lgkmcnt(7)
	v_mul_f64 v[80:81], v[8:9], v[28:29]
	;; [unrolled: 2-line block ×4, first 2 shown]
	v_mul_f64 v[28:29], v[10:11], v[28:29]
	v_mul_f64 v[58:59], v[14:15], v[58:59]
	;; [unrolled: 1-line block ×4, first 2 shown]
	v_fmac_f64_e32 v[50:51], v[2:3], v[16:17]
	v_fmac_f64_e32 v[80:81], v[10:11], v[26:27]
	;; [unrolled: 1-line block ×4, first 2 shown]
	v_fma_f64 v[26:27], v[26:27], v[8:9], -v[28:29]
	v_fma_f64 v[28:29], v[56:57], v[12:13], -v[58:59]
	;; [unrolled: 1-line block ×4, first 2 shown]
	v_add_f64 v[0:1], v[50:51], -v[80:81]
	v_add_f64 v[2:3], v[82:83], -v[84:85]
	v_add_f64 v[4:5], v[80:81], v[84:85]
	v_add_f64 v[6:7], v[80:81], -v[50:51]
	v_add_f64 v[8:9], v[84:85], -v[82:83]
	s_waitcnt lgkmcnt(1)
	v_add_f64 v[12:13], v[80:81], v[74:75]
	v_add_f64 v[86:87], v[26:27], v[28:29]
	;; [unrolled: 1-line block ×3, first 2 shown]
	v_add_f64 v[18:19], v[26:27], -v[28:29]
	v_add_f64 v[10:11], v[50:51], v[82:83]
	v_add_f64 v[14:15], v[16:17], -v[26:27]
	v_add_f64 v[58:59], v[50:51], -v[82:83]
	;; [unrolled: 1-line block ×4, first 2 shown]
	v_add_f64 v[94:95], v[0:1], v[2:3]
	v_fma_f64 v[2:3], -0.5, v[4:5], v[74:75]
	v_add_f64 v[96:97], v[6:7], v[8:9]
	v_add_f64 v[8:9], v[50:51], v[12:13]
	v_fma_f64 v[0:1], -0.5, v[86:87], v[72:73]
	v_fma_f64 v[4:5], -0.5, v[92:93], v[72:73]
	v_add_f64 v[26:27], v[26:27], v[72:73]
	v_add_f64 v[36:37], v[16:17], -v[34:35]
	v_add_f64 v[56:57], v[34:35], -v[28:29]
	;; [unrolled: 1-line block ×3, first 2 shown]
	v_fma_f64 v[6:7], -0.5, v[10:11], v[74:75]
	v_add_f64 v[74:75], v[82:83], v[8:9]
	v_fma_f64 v[8:9], s[2:3], v[58:59], v[0:1]
	v_fmac_f64_e32 v[0:1], s[10:11], v[58:59]
	v_fma_f64 v[12:13], s[10:11], v[80:81], v[4:5]
	v_fmac_f64_e32 v[4:5], s[2:3], v[80:81]
	v_add_f64 v[16:17], v[16:17], v[26:27]
	v_add_f64 v[50:51], v[14:15], v[56:57]
	;; [unrolled: 1-line block ×3, first 2 shown]
	v_fma_f64 v[14:15], s[2:3], v[18:19], v[6:7]
	v_fmac_f64_e32 v[6:7], s[10:11], v[18:19]
	v_fmac_f64_e32 v[8:9], s[12:13], v[80:81]
	;; [unrolled: 1-line block ×5, first 2 shown]
	v_add_f64 v[16:17], v[34:35], v[16:17]
	v_fma_f64 v[10:11], s[10:11], v[36:37], v[2:3]
	v_fmac_f64_e32 v[2:3], s[2:3], v[36:37]
	v_fmac_f64_e32 v[14:15], s[6:7], v[36:37]
	;; [unrolled: 1-line block ×7, first 2 shown]
	v_add_f64 v[16:17], v[28:29], v[16:17]
	s_waitcnt vmcnt(3)
	v_mul_f64 v[28:29], v[42:43], v[24:25]
	s_waitcnt vmcnt(2)
	v_mul_f64 v[36:37], v[46:47], v[32:33]
	s_waitcnt vmcnt(0)
	v_mul_f64 v[50:51], v[68:69], v[40:41]
	v_mul_f64 v[56:57], v[64:65], v[62:63]
	v_fmac_f64_e32 v[28:29], v[44:45], v[22:23]
	v_fmac_f64_e32 v[36:37], v[48:49], v[30:31]
	v_fmac_f64_e32 v[50:51], v[70:71], v[38:39]
	v_fmac_f64_e32 v[56:57], v[66:67], v[60:61]
	v_add_f64 v[26:27], v[28:29], -v[36:37]
	v_add_f64 v[34:35], v[50:51], -v[56:57]
	v_add_f64 v[34:35], v[26:27], v[34:35]
	v_mul_f64 v[26:27], v[48:49], v[32:33]
	v_mul_f64 v[24:25], v[44:45], v[24:25]
	v_fma_f64 v[46:47], v[30:31], v[46:47], -v[26:27]
	v_mul_f64 v[26:27], v[66:67], v[62:63]
	v_fma_f64 v[22:23], v[22:23], v[42:43], -v[24:25]
	;; [unrolled: 2-line block ×3, first 2 shown]
	v_add_f64 v[26:27], v[36:37], v[56:57]
	v_fma_f64 v[40:41], v[38:39], v[68:69], -v[24:25]
	s_waitcnt lgkmcnt(0)
	v_fma_f64 v[26:27], -0.5, v[26:27], v[78:79]
	v_add_f64 v[24:25], v[22:23], -v[40:41]
	v_add_f64 v[32:33], v[46:47], -v[48:49]
	v_fma_f64 v[30:31], s[10:11], v[24:25], v[26:27]
	v_fmac_f64_e32 v[26:27], s[2:3], v[24:25]
	v_fmac_f64_e32 v[30:31], s[6:7], v[32:33]
	;; [unrolled: 1-line block ×5, first 2 shown]
	v_add_f64 v[34:35], v[36:37], -v[28:29]
	v_add_f64 v[38:39], v[56:57], -v[50:51]
	v_add_f64 v[42:43], v[34:35], v[38:39]
	v_add_f64 v[34:35], v[28:29], v[50:51]
	v_fma_f64 v[34:35], -0.5, v[34:35], v[78:79]
	v_fma_f64 v[38:39], s[2:3], v[32:33], v[34:35]
	v_fmac_f64_e32 v[34:35], s[10:11], v[32:33]
	v_fmac_f64_e32 v[38:39], s[6:7], v[24:25]
	;; [unrolled: 1-line block ×3, first 2 shown]
	v_add_f64 v[24:25], v[36:37], v[78:79]
	v_add_f64 v[24:25], v[28:29], v[24:25]
	;; [unrolled: 1-line block ×3, first 2 shown]
	v_fmac_f64_e32 v[38:39], s[8:9], v[42:43]
	v_fmac_f64_e32 v[34:35], s[8:9], v[42:43]
	v_add_f64 v[42:43], v[56:57], v[24:25]
	v_add_f64 v[24:25], v[22:23], -v[46:47]
	v_add_f64 v[32:33], v[40:41], -v[48:49]
	v_add_f64 v[32:33], v[24:25], v[32:33]
	v_add_f64 v[24:25], v[46:47], v[48:49]
	v_add_f64 v[44:45], v[28:29], -v[50:51]
	v_fma_f64 v[24:25], -0.5, v[24:25], v[76:77]
	v_fma_f64 v[28:29], s[2:3], v[44:45], v[24:25]
	v_add_f64 v[50:51], v[36:37], -v[56:57]
	v_fmac_f64_e32 v[24:25], s[10:11], v[44:45]
	v_fmac_f64_e32 v[28:29], s[12:13], v[50:51]
	;; [unrolled: 1-line block ×5, first 2 shown]
	v_add_f64 v[32:33], v[46:47], -v[22:23]
	v_add_f64 v[36:37], v[48:49], -v[40:41]
	v_add_f64 v[56:57], v[32:33], v[36:37]
	v_add_f64 v[32:33], v[22:23], v[40:41]
	v_fma_f64 v[32:33], -0.5, v[32:33], v[76:77]
	v_fma_f64 v[36:37], s[10:11], v[50:51], v[32:33]
	v_fmac_f64_e32 v[32:33], s[2:3], v[50:51]
	v_fmac_f64_e32 v[36:37], s[12:13], v[44:45]
	;; [unrolled: 1-line block ×3, first 2 shown]
	v_add_f64 v[44:45], v[46:47], v[76:77]
	v_add_f64 v[22:23], v[22:23], v[44:45]
	v_add_f64 v[22:23], v[40:41], v[22:23]
	v_fmac_f64_e32 v[32:33], s[8:9], v[56:57]
	v_add_f64 v[40:41], v[48:49], v[22:23]
	v_lshl_add_u64 v[22:23], v[52:53], 4, v[54:55]
	global_store_dwordx4 v[22:23], v[40:43], off
	global_store_dwordx4 v[22:23], v[32:35], off offset:3520
	v_fmac_f64_e32 v[10:11], s[6:7], v[18:19]
	v_fmac_f64_e32 v[2:3], s[12:13], v[18:19]
	v_add_co_u32_e32 v32, vcc, s0, v22
	s_movk_i32 s0, 0x2000
	s_nop 0
	v_addc_co_u32_e32 v33, vcc, 0, v23, vcc
	global_store_dwordx4 v[32:33], v[24:27], off offset:2944
	v_add_f64 v[18:19], v[84:85], v[74:75]
	v_fmac_f64_e32 v[36:37], s[8:9], v[56:57]
	v_add_co_u32_e32 v24, vcc, s0, v22
	s_movk_i32 s0, 0x3000
	s_nop 0
	v_addc_co_u32_e32 v25, vcc, 0, v23, vcc
	global_store_dwordx4 v[24:25], v[28:31], off offset:2368
	v_add_co_u32_e32 v24, vcc, s0, v22
	s_mov_b32 s0, 0x94f2095
	v_mul_hi_u32 v20, v20, s0
	v_lshrrev_b32_e32 v20, 1, v20
	v_mul_u32_u24_e32 v20, 0x370, v20
	v_addc_co_u32_e32 v25, vcc, 0, v23, vcc
	v_lshl_add_u64 v[20:21], v[20:21], 4, v[22:23]
	s_mov_b64 s[0:1], 0x6e0
	v_fmac_f64_e32 v[6:7], s[8:9], v[96:97]
	global_store_dwordx4 v[24:25], v[36:39], off offset:1792
	v_lshl_add_u64 v[22:23], v[20:21], 0, s[0:1]
	global_store_dwordx4 v[20:21], v[16:19], off offset:1760
	global_store_dwordx4 v[22:23], v[4:7], off offset:3520
	v_fmac_f64_e32 v[2:3], s[8:9], v[94:95]
	v_fmac_f64_e32 v[10:11], s[8:9], v[94:95]
	v_add_co_u32_e32 v4, vcc, 0x2000, v20
	v_fmac_f64_e32 v[14:15], s[8:9], v[96:97]
	s_nop 0
	v_addc_co_u32_e32 v5, vcc, 0, v21, vcc
	global_store_dwordx4 v[4:5], v[0:3], off offset:608
	s_nop 1
	v_add_co_u32_e32 v0, vcc, 0x3000, v20
	s_nop 1
	v_addc_co_u32_e32 v1, vcc, 0, v21, vcc
	global_store_dwordx4 v[0:1], v[8:11], off offset:32
	global_store_dwordx4 v[0:1], v[12:15], off offset:3552
.LBB0_17:
	s_endpgm
	.section	.rodata,"a",@progbits
	.p2align	6, 0x0
	.amdhsa_kernel fft_rtc_fwd_len1100_factors_2_2_11_5_5_wgs_110_tpt_110_dp_ip_CI_unitstride_sbrr_dirReg
		.amdhsa_group_segment_fixed_size 0
		.amdhsa_private_segment_fixed_size 0
		.amdhsa_kernarg_size 88
		.amdhsa_user_sgpr_count 2
		.amdhsa_user_sgpr_dispatch_ptr 0
		.amdhsa_user_sgpr_queue_ptr 0
		.amdhsa_user_sgpr_kernarg_segment_ptr 1
		.amdhsa_user_sgpr_dispatch_id 0
		.amdhsa_user_sgpr_kernarg_preload_length 0
		.amdhsa_user_sgpr_kernarg_preload_offset 0
		.amdhsa_user_sgpr_private_segment_size 0
		.amdhsa_uses_dynamic_stack 0
		.amdhsa_enable_private_segment 0
		.amdhsa_system_sgpr_workgroup_id_x 1
		.amdhsa_system_sgpr_workgroup_id_y 0
		.amdhsa_system_sgpr_workgroup_id_z 0
		.amdhsa_system_sgpr_workgroup_info 0
		.amdhsa_system_vgpr_workitem_id 0
		.amdhsa_next_free_vgpr 140
		.amdhsa_next_free_sgpr 38
		.amdhsa_accum_offset 140
		.amdhsa_reserve_vcc 1
		.amdhsa_float_round_mode_32 0
		.amdhsa_float_round_mode_16_64 0
		.amdhsa_float_denorm_mode_32 3
		.amdhsa_float_denorm_mode_16_64 3
		.amdhsa_dx10_clamp 1
		.amdhsa_ieee_mode 1
		.amdhsa_fp16_overflow 0
		.amdhsa_tg_split 0
		.amdhsa_exception_fp_ieee_invalid_op 0
		.amdhsa_exception_fp_denorm_src 0
		.amdhsa_exception_fp_ieee_div_zero 0
		.amdhsa_exception_fp_ieee_overflow 0
		.amdhsa_exception_fp_ieee_underflow 0
		.amdhsa_exception_fp_ieee_inexact 0
		.amdhsa_exception_int_div_zero 0
	.end_amdhsa_kernel
	.text
.Lfunc_end0:
	.size	fft_rtc_fwd_len1100_factors_2_2_11_5_5_wgs_110_tpt_110_dp_ip_CI_unitstride_sbrr_dirReg, .Lfunc_end0-fft_rtc_fwd_len1100_factors_2_2_11_5_5_wgs_110_tpt_110_dp_ip_CI_unitstride_sbrr_dirReg
                                        ; -- End function
	.section	.AMDGPU.csdata,"",@progbits
; Kernel info:
; codeLenInByte = 8196
; NumSgprs: 44
; NumVgprs: 140
; NumAgprs: 0
; TotalNumVgprs: 140
; ScratchSize: 0
; MemoryBound: 1
; FloatMode: 240
; IeeeMode: 1
; LDSByteSize: 0 bytes/workgroup (compile time only)
; SGPRBlocks: 5
; VGPRBlocks: 17
; NumSGPRsForWavesPerEU: 44
; NumVGPRsForWavesPerEU: 140
; AccumOffset: 140
; Occupancy: 3
; WaveLimiterHint : 1
; COMPUTE_PGM_RSRC2:SCRATCH_EN: 0
; COMPUTE_PGM_RSRC2:USER_SGPR: 2
; COMPUTE_PGM_RSRC2:TRAP_HANDLER: 0
; COMPUTE_PGM_RSRC2:TGID_X_EN: 1
; COMPUTE_PGM_RSRC2:TGID_Y_EN: 0
; COMPUTE_PGM_RSRC2:TGID_Z_EN: 0
; COMPUTE_PGM_RSRC2:TIDIG_COMP_CNT: 0
; COMPUTE_PGM_RSRC3_GFX90A:ACCUM_OFFSET: 34
; COMPUTE_PGM_RSRC3_GFX90A:TG_SPLIT: 0
	.text
	.p2alignl 6, 3212836864
	.fill 256, 4, 3212836864
	.type	__hip_cuid_65fa53f9a7b81114,@object ; @__hip_cuid_65fa53f9a7b81114
	.section	.bss,"aw",@nobits
	.globl	__hip_cuid_65fa53f9a7b81114
__hip_cuid_65fa53f9a7b81114:
	.byte	0                               ; 0x0
	.size	__hip_cuid_65fa53f9a7b81114, 1

	.ident	"AMD clang version 19.0.0git (https://github.com/RadeonOpenCompute/llvm-project roc-6.4.0 25133 c7fe45cf4b819c5991fe208aaa96edf142730f1d)"
	.section	".note.GNU-stack","",@progbits
	.addrsig
	.addrsig_sym __hip_cuid_65fa53f9a7b81114
	.amdgpu_metadata
---
amdhsa.kernels:
  - .agpr_count:     0
    .args:
      - .actual_access:  read_only
        .address_space:  global
        .offset:         0
        .size:           8
        .value_kind:     global_buffer
      - .offset:         8
        .size:           8
        .value_kind:     by_value
      - .actual_access:  read_only
        .address_space:  global
        .offset:         16
        .size:           8
        .value_kind:     global_buffer
      - .actual_access:  read_only
        .address_space:  global
        .offset:         24
        .size:           8
        .value_kind:     global_buffer
      - .offset:         32
        .size:           8
        .value_kind:     by_value
      - .actual_access:  read_only
        .address_space:  global
        .offset:         40
        .size:           8
        .value_kind:     global_buffer
      - .actual_access:  read_only
        .address_space:  global
        .offset:         48
        .size:           8
        .value_kind:     global_buffer
      - .offset:         56
        .size:           4
        .value_kind:     by_value
      - .actual_access:  read_only
        .address_space:  global
        .offset:         64
        .size:           8
        .value_kind:     global_buffer
      - .actual_access:  read_only
        .address_space:  global
        .offset:         72
        .size:           8
        .value_kind:     global_buffer
      - .address_space:  global
        .offset:         80
        .size:           8
        .value_kind:     global_buffer
    .group_segment_fixed_size: 0
    .kernarg_segment_align: 8
    .kernarg_segment_size: 88
    .language:       OpenCL C
    .language_version:
      - 2
      - 0
    .max_flat_workgroup_size: 110
    .name:           fft_rtc_fwd_len1100_factors_2_2_11_5_5_wgs_110_tpt_110_dp_ip_CI_unitstride_sbrr_dirReg
    .private_segment_fixed_size: 0
    .sgpr_count:     44
    .sgpr_spill_count: 0
    .symbol:         fft_rtc_fwd_len1100_factors_2_2_11_5_5_wgs_110_tpt_110_dp_ip_CI_unitstride_sbrr_dirReg.kd
    .uniform_work_group_size: 1
    .uses_dynamic_stack: false
    .vgpr_count:     140
    .vgpr_spill_count: 0
    .wavefront_size: 64
amdhsa.target:   amdgcn-amd-amdhsa--gfx950
amdhsa.version:
  - 1
  - 2
...

	.end_amdgpu_metadata
